;; amdgpu-corpus repo=zjin-lcf/HeCBench kind=compiled arch=gfx1030 opt=O3
	.amdgcn_target "amdgcn-amd-amdhsa--gfx1030"
	.amdhsa_code_object_version 6
	.text
	.protected	_Z5colorPhiiff          ; -- Begin function _Z5colorPhiiff
	.globl	_Z5colorPhiiff
	.p2align	8
	.type	_Z5colorPhiiff,@function
_Z5colorPhiiff:                         ; @_Z5colorPhiiff
; %bb.0:
	s_add_u32 s0, s0, s8
	s_clause 0x1
	s_load_dword s12, s[4:5], 0x24
	s_load_dwordx4 s[8:11], s[4:5], 0x8
	s_addc_u32 s1, s1, 0
	s_waitcnt lgkmcnt(0)
	s_lshr_b32 s13, s12, 16
	s_and_b32 s12, s12, 0xffff
	v_mad_u64_u32 v[1:2], null, s7, s13, v[1:2]
	v_mad_u64_u32 v[2:3], null, s6, s12, v[0:1]
	s_mov_b32 s6, exec_lo
	v_max_i32_e32 v0, v1, v2
	v_cmpx_gt_i32_e64 s8, v0
	s_cbranch_execz .LBB0_3
; %bb.1:
	v_cmp_ne_u32_e32 vcc_lo, s9, v2
	v_cmp_ne_u32_e64 s6, s9, v1
	s_and_b32 s6, s6, vcc_lo
	s_and_b32 exec_lo, exec_lo, s6
	s_cbranch_execz .LBB0_3
; %bb.2:
	v_cvt_f32_i32_e32 v4, v1
	v_cvt_f32_i32_e32 v6, s9
	;; [unrolled: 1-line block ×3, first 2 shown]
	v_mov_b32_e32 v15, 17
	v_mov_b32_e32 v16, 34
	;; [unrolled: 1-line block ×3, first 2 shown]
	v_div_scale_f32 v3, null, v6, v6, v4
	v_div_scale_f32 v8, null, v6, v6, v7
	v_div_scale_f32 v11, vcc_lo, v4, v6, v4
	v_rcp_f32_e32 v9, v3
	v_rcp_f32_e32 v10, v8
	v_div_scale_f32 v12, s6, v7, v6, v7
	v_mov_b32_e32 v49, 0x4016cbe4
	v_mov_b32_e32 v19, 0x66
	;; [unrolled: 1-line block ×6, first 2 shown]
	v_fma_f32 v0, -v3, v9, 1.0
	v_fma_f32 v5, -v8, v10, 1.0
	v_mov_b32_e32 v22, 0x88
	v_mov_b32_e32 v27, 0xcc
	;; [unrolled: 1-line block ×3, first 2 shown]
	v_fmac_f32_e32 v9, v0, v9
	v_fmac_f32_e32 v10, v5, v10
	v_mov_b32_e32 v26, 0xbb
	v_mov_b32_e32 v25, 0xa3
	;; [unrolled: 1-line block ×3, first 2 shown]
	v_mul_f32_e32 v13, v11, v9
	v_mul_f32_e32 v14, v12, v10
	v_mov_b32_e32 v29, 0x74
	v_mov_b32_e32 v33, 0x46
	;; [unrolled: 1-line block ×3, first 2 shown]
	v_fma_f32 v0, -v3, v13, v11
	v_fma_f32 v5, -v8, v14, v12
	v_mov_b32_e32 v47, 0xd7
	v_mov_b32_e32 v32, 0x5d
	;; [unrolled: 1-line block ×3, first 2 shown]
	v_fmac_f32_e32 v13, v0, v9
	v_fmac_f32_e32 v14, v5, v10
	v_mov_b32_e32 v0, 0xff
	v_mov_b32_e32 v5, 0
	buffer_store_dword v0, off, s[0:3], 0
	buffer_store_dword v5, off, s[0:3], 0 offset:4
	v_fma_f32 v3, -v3, v13, v11
	v_fma_f32 v8, -v8, v14, v12
	buffer_store_dword v5, off, s[0:3], 0 offset:8
	buffer_store_dword v0, off, s[0:3], 0 offset:12
	;; [unrolled: 1-line block ×9, first 2 shown]
	v_div_fmas_f32 v9, v3, v9, v13
	s_mov_b32 vcc_lo, s6
	v_mov_b32_e32 v3, 0x55
	v_div_fmas_f32 v8, v8, v10, v14
	v_mov_b32_e32 v11, 63
	v_div_fixup_f32 v4, v9, v6, v4
	v_mov_b32_e32 v12, 0x7f
	buffer_store_dword v5, off, s[0:3], 0 offset:44
	buffer_store_dword v0, off, s[0:3], 0 offset:48
	;; [unrolled: 1-line block ×4, first 2 shown]
	v_div_fixup_f32 v7, v8, v6, v7
	v_mov_b32_e32 v8, 43
	v_fma_f32 v10, s10, v4, -s10
	v_mov_b32_e32 v4, 0xaa
	v_mov_b32_e32 v6, 0xd5
	v_fma_f32 v9, s10, v7, -s10
	v_mov_b32_e32 v7, 0x80
	v_div_scale_f32 v39, null, s11, s11, v10
	v_div_scale_f32 v43, s6, v10, s11, v10
	v_div_scale_f32 v38, null, s11, s11, v9
	v_rcp_f32_e32 v41, v39
	v_div_scale_f32 v42, vcc_lo, v9, s11, v9
	v_rcp_f32_e32 v40, v38
	buffer_store_dword v0, off, s[0:3], 0 offset:60
	buffer_store_dword v3, off, s[0:3], 0 offset:64
	;; [unrolled: 1-line block ×24, first 2 shown]
	v_fma_f32 v23, -v39, v41, 1.0
	buffer_store_dword v0, off, s[0:3], 0 offset:156
	buffer_store_dword v30, off, s[0:3], 0 offset:160
	;; [unrolled: 1-line block ×8, first 2 shown]
	v_fma_f32 v20, -v38, v40, 1.0
	buffer_store_dword v5, off, s[0:3], 0 offset:188
	buffer_store_dword v6, off, s[0:3], 0 offset:192
	;; [unrolled: 1-line block ×4, first 2 shown]
	v_fmac_f32_e32 v41, v23, v41
	buffer_store_dword v4, off, s[0:3], 0 offset:204
	buffer_store_dword v0, off, s[0:3], 0 offset:208
	buffer_store_dword v5, off, s[0:3], 0 offset:212
	buffer_store_dword v7, off, s[0:3], 0 offset:216
	buffer_store_dword v0, off, s[0:3], 0 offset:220
	buffer_store_dword v5, off, s[0:3], 0 offset:224
	buffer_store_dword v3, off, s[0:3], 0 offset:228
	v_fmac_f32_e32 v40, v20, v40
	buffer_store_dword v0, off, s[0:3], 0 offset:232
	buffer_store_dword v5, off, s[0:3], 0 offset:236
	v_mul_f32_e32 v45, v43, v41
	buffer_store_dword v8, off, s[0:3], 0 offset:240
	buffer_store_dword v0, off, s[0:3], 0 offset:244
	v_mul_f32_e32 v44, v42, v40
	buffer_store_dword v5, off, s[0:3], 0 offset:248
	buffer_store_dword v5, off, s[0:3], 0 offset:252
	;; [unrolled: 1-line block ×3, first 2 shown]
	v_fma_f32 v36, -v39, v45, v43
	buffer_store_dword v5, off, s[0:3], 0 offset:260
	buffer_store_dword v5, off, s[0:3], 0 offset:264
	;; [unrolled: 1-line block ×6, first 2 shown]
	v_fma_f32 v35, -v38, v44, v42
	v_mov_b32_e32 v13, 0xbf
	v_fmac_f32_e32 v45, v36, v41
	buffer_store_dword v12, off, s[0:3], 0 offset:284
	buffer_store_dword v5, off, s[0:3], 0 offset:288
	;; [unrolled: 1-line block ×7, first 2 shown]
	v_fmac_f32_e32 v44, v35, v40
	v_fma_f32 v39, -v39, v45, v43
	v_mov_b32_e32 v14, 0xe8
	v_mov_b32_e32 v20, 0xd1
	;; [unrolled: 1-line block ×3, first 2 shown]
	v_fma_f32 v42, -v38, v44, v42
	buffer_store_dword v5, off, s[0:3], 0 offset:312
	buffer_store_dword v14, off, s[0:3], 0 offset:316
	;; [unrolled: 1-line block ×9, first 2 shown]
	s_mov_b32 s10, 0
	v_mov_b32_e32 v35, 24
	v_mov_b32_e32 v36, 19
	v_div_fmas_f32 v42, v42, v40, v44
	s_mov_b32 vcc_lo, s6
	s_mov_b32 s6, 0x3b2d2a58
	v_div_fmas_f32 v43, v39, v41, v45
	v_mov_b32_e32 v39, 0x4e
	v_div_fixup_f32 v9, v42, s11, v9
	v_mov_b32_e32 v40, 0x62
	v_mov_b32_e32 v42, 0x89
	v_div_fixup_f32 v10, v43, s11, v10
	v_mov_b32_e32 v44, 0xb0
	v_mov_b32_e32 v38, 58
	;; [unrolled: 1-line block ×4, first 2 shown]
	v_max_f32_e64 v46, |v9|, |v10|
	v_min_f32_e64 v51, |v9|, |v10|
	v_cmp_gt_f32_e64 vcc_lo, |v10|, |v9|
	v_cmp_class_f32_e64 s7, v10, 0x204
	v_mov_b32_e32 v45, 0xc4
	v_frexp_mant_f32_e32 v50, v46
	v_frexp_exp_i32_f32_e32 v46, v46
	v_frexp_exp_i32_f32_e32 v52, v51
	v_frexp_mant_f32_e32 v51, v51
	v_mov_b32_e32 v48, 0xeb
	v_rcp_f32_e32 v50, v50
	buffer_store_dword v28, off, s[0:3], 0 offset:364
	buffer_store_dword v5, off, s[0:3], 0 offset:372
	v_sub_nc_u32_e32 v15, v52, v46
	buffer_store_dword v29, off, s[0:3], 0 offset:376
	buffer_store_dword v5, off, s[0:3], 0 offset:384
	;; [unrolled: 1-line block ×26, first 2 shown]
	v_mul_f32_e32 v46, v51, v50
	buffer_store_dword v5, off, s[0:3], 0 offset:532
	buffer_store_dword v44, off, s[0:3], 0 offset:540
	;; [unrolled: 1-line block ×15, first 2 shown]
	v_ldexp_f32 v15, v46, v15
	buffer_store_dword v0, off, s[0:3], 0 offset:624
	buffer_store_dword v5, off, s[0:3], 0 offset:628
	;; [unrolled: 1-line block ×6, first 2 shown]
	v_mul_f32_e32 v16, v15, v15
	v_fmaak_f32 v17, s6, v16, 0xbc7a590c
	v_fmaak_f32 v17, v16, v17, 0x3d29fb3f
	v_fmaak_f32 v17, v16, v17, 0xbd97d4d7
	v_fmaak_f32 v17, v16, v17, 0x3dd931b2
	v_fmaak_f32 v17, v16, v17, 0xbe1160e6
	v_fmaak_f32 v17, v16, v17, 0x3e4cb8bf
	v_fmaak_f32 v17, v16, v17, 0xbeaaaa62
	v_mul_f32_e32 v16, v16, v17
	v_fmac_f32_e32 v15, v15, v16
	v_sub_f32_e32 v16, 0x3fc90fdb, v15
	v_cndmask_b32_e32 v15, v15, v16, vcc_lo
	v_xor_b32_e32 v16, 0x80000000, v9
	v_cmp_lt_f32_e32 vcc_lo, 0, v9
	v_sub_f32_e32 v17, 0x40490fdb, v15
	v_cmp_gt_i32_e64 s6, 0, v16
	v_cndmask_b32_e32 v15, v15, v17, vcc_lo
	v_cndmask_b32_e64 v16, 0, 0x40490fdb, s6
	v_cndmask_b32_e32 v17, 0x3f490fdb, v49, vcc_lo
	v_cmp_eq_f32_e32 vcc_lo, 0, v10
	v_cmp_class_f32_e64 s6, v9, 0x204
	v_cndmask_b32_e32 v15, v15, v16, vcc_lo
	s_and_b32 vcc_lo, s7, s6
	v_xor_b32_e32 v16, 0x80000000, v10
	v_cndmask_b32_e32 v15, v15, v17, vcc_lo
	v_cmp_o_f32_e32 vcc_lo, v9, v10
	v_cndmask_b32_e32 v15, 0x7fc00000, v15, vcc_lo
	v_bfi_b32 v11, 0x7fffffff, v15, v16
	v_div_scale_f32 v12, null, 0x40490fdb, 0x40490fdb, v11
	v_div_scale_f32 v15, vcc_lo, v11, 0x40490fdb, v11
	v_rcp_f32_e32 v13, v12
	v_fma_f32 v14, -v12, v13, 1.0
	v_fmac_f32_e32 v13, v14, v13
	v_mul_f32_e32 v14, v15, v13
	v_fma_f32 v16, -v12, v14, v15
	v_fmac_f32_e32 v14, v16, v13
	v_fma_f32 v12, -v12, v14, v15
	v_div_fmas_f32 v12, v12, v13, v14
	v_div_fixup_f32 v11, v12, 0x40490fdb, v11
	v_add_f32_e32 v11, 1.0, v11
	v_mul_f32_e32 v14, 0.5, v11
	v_mul_f32_e32 v11, 0x42580000, v14
	v_cvt_i32_f32_e32 v15, v11
	v_mad_u64_u32 v[11:12], null, v15, 12, s[10:11]
	v_add_nc_u32_e32 v12, 1, v15
	v_cvt_f32_i32_e32 v15, v15
	v_mul_hi_i32 v13, 0x94f2095, v12
	s_clause 0x1
	buffer_load_dword v16, v11, s[0:3], 0 offen
	buffer_load_dword v5, v11, s[0:3], 0 offen offset:4
	buffer_store_dword v0, off, s[0:3], 0 offset:320
	buffer_store_dword v0, off, s[0:3], 0 offset:332
	buffer_store_dword v0, off, s[0:3], 0 offset:344
	buffer_store_dword v0, off, s[0:3], 0 offset:356
	buffer_store_dword v0, off, s[0:3], 0 offset:368
	buffer_store_dword v0, off, s[0:3], 0 offset:380
	buffer_store_dword v0, off, s[0:3], 0 offset:392
	buffer_store_dword v0, off, s[0:3], 0 offset:404
	buffer_store_dword v0, off, s[0:3], 0 offset:416
	buffer_store_dword v0, off, s[0:3], 0 offset:428
	buffer_store_dword v0, off, s[0:3], 0 offset:440
	buffer_store_dword v0, off, s[0:3], 0 offset:452
	buffer_store_dword v0, off, s[0:3], 0 offset:464
	buffer_store_dword v0, off, s[0:3], 0 offset:476
	buffer_store_dword v0, off, s[0:3], 0 offset:488
	buffer_store_dword v0, off, s[0:3], 0 offset:500
	buffer_store_dword v0, off, s[0:3], 0 offset:512
	buffer_store_dword v0, off, s[0:3], 0 offset:524
	buffer_store_dword v0, off, s[0:3], 0 offset:536
	buffer_store_dword v0, off, s[0:3], 0 offset:548
	buffer_store_dword v0, off, s[0:3], 0 offset:560
	buffer_store_dword v0, off, s[0:3], 0 offset:572
	v_lshrrev_b32_e32 v17, 31, v13
	v_lshrrev_b32_e32 v13, 1, v13
	buffer_store_dword v0, off, s[0:3], 0 offset:584
	buffer_store_dword v0, off, s[0:3], 0 offset:596
	;; [unrolled: 1-line block ×7, first 2 shown]
	v_mul_f32_e32 v0, v9, v9
	v_add_nc_u32_e32 v13, v13, v17
	v_fmac_f32_e32 v0, v10, v10
	v_mul_lo_u32 v13, v13, 55
	v_mul_f32_e32 v3, 0x4f800000, v0
	v_cmp_gt_f32_e64 s6, 0xf800000, v0
	v_sub_nc_u32_e32 v12, v12, v13
	v_cndmask_b32_e64 v9, v0, v3, s6
	v_ashrrev_i32_e32 v3, 31, v2
	v_mad_u64_u32 v[12:13], null, v12, 12, s[10:11]
	s_clause 0x3
	buffer_load_dword v4, v12, s[0:3], 0 offen
	buffer_load_dword v6, v12, s[0:3], 0 offen offset:4
	buffer_load_dword v7, v12, s[0:3], 0 offen offset:8
	;; [unrolled: 1-line block ×3, first 2 shown]
	v_sqrt_f32_e32 v0, v9
	s_load_dwordx2 s[10:11], s[4:5], 0x0
	v_add_nc_u32_e32 v13, -1, v0
	v_add_nc_u32_e32 v18, 1, v0
	v_fma_f32 v19, -v13, v0, v9
	v_fma_f32 v20, -v18, v0, v9
	v_cmp_ge_f32_e32 vcc_lo, 0, v19
	v_cmp_lt_f32_e64 s5, 0, v20
	v_cndmask_b32_e32 v0, v0, v13, vcc_lo
	s_waitcnt vmcnt(5)
	v_cvt_f32_i32_e32 v10, v16
	s_waitcnt vmcnt(4)
	v_cvt_f32_i32_e32 v5, v5
	v_div_scale_f32 v11, null, 0x437f0000, 0x437f0000, v10
	v_div_scale_f32 v12, null, 0x437f0000, 0x437f0000, v5
	v_div_scale_f32 v21, vcc_lo, v10, 0x437f0000, v10
	v_rcp_f32_e32 v16, v11
	v_rcp_f32_e32 v17, v12
	v_div_scale_f32 v22, s4, v5, 0x437f0000, v5
	v_fma_f32 v13, -v11, v16, 1.0
	v_fma_f32 v19, -v12, v17, 1.0
	v_fmac_f32_e32 v16, v13, v16
	v_cndmask_b32_e64 v13, v0, v18, s5
	v_mad_i64_i32 v[0:1], null, v1, s8, v[2:3]
	v_fma_f32 v2, 0x42580000, v14, -v15
	v_mul_f32_e32 v18, v21, v16
	v_fmac_f32_e32 v17, v19, v17
	v_mul_f32_e32 v20, 0x37800000, v13
	s_waitcnt vmcnt(3)
	v_cvt_f32_i32_e32 v4, v4
	s_waitcnt vmcnt(2)
	v_cvt_f32_i32_e32 v6, v6
	v_fma_f32 v3, -v11, v18, v21
	s_waitcnt vmcnt(0)
	v_cvt_f32_i32_e32 v8, v8
	v_cvt_f32_i32_e32 v7, v7
	v_div_scale_f32 v15, null, 0x437f0000, 0x437f0000, v4
	v_div_scale_f32 v23, null, 0x437f0000, 0x437f0000, v6
	v_fmac_f32_e32 v18, v3, v16
	v_rcp_f32_e32 v3, v15
	v_div_scale_f32 v24, null, 0x437f0000, 0x437f0000, v8
	v_div_scale_f32 v25, null, 0x437f0000, 0x437f0000, v7
	v_rcp_f32_e32 v26, v23
	v_rcp_f32_e32 v27, v24
	v_mul_f32_e32 v19, v22, v17
	v_rcp_f32_e32 v28, v25
	v_div_scale_f32 v29, s5, v4, 0x437f0000, v4
	v_fma_f32 v32, -v15, v3, 1.0
	v_fma_f32 v14, -v12, v19, v22
	v_div_scale_f32 v30, s7, v6, 0x437f0000, v6
	v_fma_f32 v33, -v23, v26, 1.0
	v_fmac_f32_e32 v3, v32, v3
	v_fma_f32 v34, -v24, v27, 1.0
	v_fma_f32 v35, -v25, v28, 1.0
	v_fmac_f32_e32 v19, v14, v17
	v_fmac_f32_e32 v26, v33, v26
	v_mul_f32_e32 v14, v29, v3
	v_div_scale_f32 v31, s8, v8, 0x437f0000, v8
	v_fmac_f32_e32 v27, v34, v27
	v_div_scale_f32 v36, s9, v7, 0x437f0000, v7
	v_fmac_f32_e32 v28, v35, v28
	v_mul_f32_e32 v32, v30, v26
	v_fma_f32 v11, -v11, v18, v21
	v_fma_f32 v21, -v15, v14, v29
	v_mul_f32_e32 v33, v31, v27
	v_mul_f32_e32 v34, v36, v28
	v_fma_f32 v35, -v23, v32, v30
	v_fma_f32 v12, -v12, v19, v22
	v_fmac_f32_e32 v14, v21, v3
	v_fma_f32 v37, -v24, v33, v31
	v_fma_f32 v38, -v25, v34, v36
	v_fmac_f32_e32 v32, v35, v26
	v_div_fmas_f32 v11, v11, v16, v18
	v_fma_f32 v15, -v15, v14, v29
	v_fmac_f32_e32 v33, v37, v27
	v_fmac_f32_e32 v34, v38, v28
	s_mov_b32 vcc_lo, s5
	v_fma_f32 v16, -v23, v32, v30
	v_div_fmas_f32 v3, v15, v3, v14
	s_mov_b32 vcc_lo, s4
	v_fma_f32 v18, -v24, v33, v31
	v_div_fmas_f32 v12, v12, v17, v19
	;; [unrolled: 3-line block ×3, first 2 shown]
	s_mov_b32 vcc_lo, s8
	v_div_fixup_f32 v3, v3, 0x437f0000, v4
	v_div_fmas_f32 v15, v18, v27, v33
	s_mov_b32 vcc_lo, s9
	v_div_fixup_f32 v6, v14, 0x437f0000, v6
	v_div_fmas_f32 v16, v21, v28, v34
	v_sub_f32_e32 v17, 1.0, v2
	v_div_fixup_f32 v4, v11, 0x437f0000, v10
	v_div_fixup_f32 v5, v12, 0x437f0000, v5
	v_mul_f32_e32 v10, v2, v3
	v_div_fixup_f32 v7, v16, 0x437f0000, v7
	v_div_fixup_f32 v8, v15, 0x437f0000, v8
	v_mul_f32_e32 v6, v2, v6
	v_cmp_class_f32_e64 vcc_lo, v9, 0x260
	v_fmac_f32_e32 v10, v17, v4
	v_mul_f32_e32 v7, v2, v7
	s_waitcnt lgkmcnt(0)
	v_mad_u64_u32 v[2:3], null, v0, 3, s[10:11]
	v_cndmask_b32_e64 v0, v13, v20, s6
	v_fmac_f32_e32 v6, v17, v5
	v_fmac_f32_e32 v7, v17, v8
	v_sub_f32_e32 v4, 1.0, v10
	v_mul_f32_e32 v5, 0x3f400000, v10
	v_cndmask_b32_e32 v0, v0, v9, vcc_lo
	v_sub_f32_e32 v8, 1.0, v6
	v_sub_f32_e32 v9, 1.0, v7
	v_mul_f32_e32 v6, 0x3f400000, v6
	v_mul_f32_e32 v7, 0x3f400000, v7
	v_fma_f32 v4, -v0, v4, 1.0
	v_cmp_nge_f32_e32 vcc_lo, 1.0, v0
	v_fma_f32 v8, -v0, v8, 1.0
	v_fma_f32 v9, -v0, v9, 1.0
	v_mov_b32_e32 v0, v3
	v_cndmask_b32_e32 v3, v4, v5, vcc_lo
	v_cndmask_b32_e32 v4, v8, v6, vcc_lo
	;; [unrolled: 1-line block ×3, first 2 shown]
	v_mad_u64_u32 v[0:1], null, v1, 3, v[0:1]
	v_mul_f32_e32 v1, 0x437f0000, v4
	v_mul_f32_e32 v4, 0x437f0000, v5
	;; [unrolled: 1-line block ×3, first 2 shown]
	v_cvt_i32_f32_sdwa v1, v1 dst_sel:BYTE_1 dst_unused:UNUSED_PAD src0_sel:DWORD
	v_cvt_i32_f32_e32 v4, v4
	v_mov_b32_e32 v3, v0
	v_cvt_i32_f32_e32 v0, v5
	v_or_b32_sdwa v1, v4, v1 dst_sel:DWORD dst_unused:UNUSED_PAD src0_sel:BYTE_0 src1_sel:DWORD
	global_store_byte v[2:3], v0, off offset:2
	global_store_short v[2:3], v1, off
.LBB0_3:
	s_endpgm
	.section	.rodata,"a",@progbits
	.p2align	6, 0x0
	.amdhsa_kernel _Z5colorPhiiff
		.amdhsa_group_segment_fixed_size 0
		.amdhsa_private_segment_fixed_size 672
		.amdhsa_kernarg_size 280
		.amdhsa_user_sgpr_count 6
		.amdhsa_user_sgpr_private_segment_buffer 1
		.amdhsa_user_sgpr_dispatch_ptr 0
		.amdhsa_user_sgpr_queue_ptr 0
		.amdhsa_user_sgpr_kernarg_segment_ptr 1
		.amdhsa_user_sgpr_dispatch_id 0
		.amdhsa_user_sgpr_flat_scratch_init 0
		.amdhsa_user_sgpr_private_segment_size 0
		.amdhsa_wavefront_size32 1
		.amdhsa_uses_dynamic_stack 0
		.amdhsa_system_sgpr_private_segment_wavefront_offset 1
		.amdhsa_system_sgpr_workgroup_id_x 1
		.amdhsa_system_sgpr_workgroup_id_y 1
		.amdhsa_system_sgpr_workgroup_id_z 0
		.amdhsa_system_sgpr_workgroup_info 0
		.amdhsa_system_vgpr_workitem_id 1
		.amdhsa_next_free_vgpr 53
		.amdhsa_next_free_sgpr 14
		.amdhsa_reserve_vcc 1
		.amdhsa_reserve_flat_scratch 0
		.amdhsa_float_round_mode_32 0
		.amdhsa_float_round_mode_16_64 0
		.amdhsa_float_denorm_mode_32 3
		.amdhsa_float_denorm_mode_16_64 3
		.amdhsa_dx10_clamp 1
		.amdhsa_ieee_mode 1
		.amdhsa_fp16_overflow 0
		.amdhsa_workgroup_processor_mode 1
		.amdhsa_memory_ordered 1
		.amdhsa_forward_progress 1
		.amdhsa_shared_vgpr_count 0
		.amdhsa_exception_fp_ieee_invalid_op 0
		.amdhsa_exception_fp_denorm_src 0
		.amdhsa_exception_fp_ieee_div_zero 0
		.amdhsa_exception_fp_ieee_overflow 0
		.amdhsa_exception_fp_ieee_underflow 0
		.amdhsa_exception_fp_ieee_inexact 0
		.amdhsa_exception_int_div_zero 0
	.end_amdhsa_kernel
	.text
.Lfunc_end0:
	.size	_Z5colorPhiiff, .Lfunc_end0-_Z5colorPhiiff
                                        ; -- End function
	.set _Z5colorPhiiff.num_vgpr, 53
	.set _Z5colorPhiiff.num_agpr, 0
	.set _Z5colorPhiiff.numbered_sgpr, 14
	.set _Z5colorPhiiff.num_named_barrier, 0
	.set _Z5colorPhiiff.private_seg_size, 672
	.set _Z5colorPhiiff.uses_vcc, 1
	.set _Z5colorPhiiff.uses_flat_scratch, 0
	.set _Z5colorPhiiff.has_dyn_sized_stack, 0
	.set _Z5colorPhiiff.has_recursion, 0
	.set _Z5colorPhiiff.has_indirect_call, 0
	.section	.AMDGPU.csdata,"",@progbits
; Kernel info:
; codeLenInByte = 3480
; TotalNumSgprs: 16
; NumVgprs: 53
; ScratchSize: 672
; MemoryBound: 1
; FloatMode: 240
; IeeeMode: 1
; LDSByteSize: 0 bytes/workgroup (compile time only)
; SGPRBlocks: 0
; VGPRBlocks: 6
; NumSGPRsForWavesPerEU: 16
; NumVGPRsForWavesPerEU: 53
; Occupancy: 16
; WaveLimiterHint : 1
; COMPUTE_PGM_RSRC2:SCRATCH_EN: 1
; COMPUTE_PGM_RSRC2:USER_SGPR: 6
; COMPUTE_PGM_RSRC2:TRAP_HANDLER: 0
; COMPUTE_PGM_RSRC2:TGID_X_EN: 1
; COMPUTE_PGM_RSRC2:TGID_Y_EN: 1
; COMPUTE_PGM_RSRC2:TGID_Z_EN: 0
; COMPUTE_PGM_RSRC2:TIDIG_COMP_CNT: 1
	.text
	.p2alignl 6, 3214868480
	.fill 48, 4, 3214868480
	.section	.AMDGPU.gpr_maximums,"",@progbits
	.set amdgpu.max_num_vgpr, 0
	.set amdgpu.max_num_agpr, 0
	.set amdgpu.max_num_sgpr, 0
	.text
	.type	__hip_cuid_820166809562f955,@object ; @__hip_cuid_820166809562f955
	.section	.bss,"aw",@nobits
	.globl	__hip_cuid_820166809562f955
__hip_cuid_820166809562f955:
	.byte	0                               ; 0x0
	.size	__hip_cuid_820166809562f955, 1

	.ident	"AMD clang version 22.0.0git (https://github.com/RadeonOpenCompute/llvm-project roc-7.2.4 26084 f58b06dce1f9c15707c5f808fd002e18c2accf7e)"
	.section	".note.GNU-stack","",@progbits
	.addrsig
	.addrsig_sym __hip_cuid_820166809562f955
	.amdgpu_metadata
---
amdhsa.kernels:
  - .args:
      - .address_space:  global
        .offset:         0
        .size:           8
        .value_kind:     global_buffer
      - .offset:         8
        .size:           4
        .value_kind:     by_value
      - .offset:         12
        .size:           4
        .value_kind:     by_value
      - .offset:         16
        .size:           4
        .value_kind:     by_value
      - .offset:         20
        .size:           4
        .value_kind:     by_value
      - .offset:         24
        .size:           4
        .value_kind:     hidden_block_count_x
      - .offset:         28
        .size:           4
        .value_kind:     hidden_block_count_y
      - .offset:         32
        .size:           4
        .value_kind:     hidden_block_count_z
      - .offset:         36
        .size:           2
        .value_kind:     hidden_group_size_x
      - .offset:         38
        .size:           2
        .value_kind:     hidden_group_size_y
      - .offset:         40
        .size:           2
        .value_kind:     hidden_group_size_z
      - .offset:         42
        .size:           2
        .value_kind:     hidden_remainder_x
      - .offset:         44
        .size:           2
        .value_kind:     hidden_remainder_y
      - .offset:         46
        .size:           2
        .value_kind:     hidden_remainder_z
      - .offset:         64
        .size:           8
        .value_kind:     hidden_global_offset_x
      - .offset:         72
        .size:           8
        .value_kind:     hidden_global_offset_y
      - .offset:         80
        .size:           8
        .value_kind:     hidden_global_offset_z
      - .offset:         88
        .size:           2
        .value_kind:     hidden_grid_dims
    .group_segment_fixed_size: 0
    .kernarg_segment_align: 8
    .kernarg_segment_size: 280
    .language:       OpenCL C
    .language_version:
      - 2
      - 0
    .max_flat_workgroup_size: 1024
    .name:           _Z5colorPhiiff
    .private_segment_fixed_size: 672
    .sgpr_count:     16
    .sgpr_spill_count: 0
    .symbol:         _Z5colorPhiiff.kd
    .uniform_work_group_size: 1
    .uses_dynamic_stack: false
    .vgpr_count:     53
    .vgpr_spill_count: 0
    .wavefront_size: 32
    .workgroup_processor_mode: 1
amdhsa.target:   amdgcn-amd-amdhsa--gfx1030
amdhsa.version:
  - 1
  - 2
...

	.end_amdgpu_metadata
